;; amdgpu-corpus repo=ROCm/rocFFT kind=compiled arch=gfx906 opt=O3
	.text
	.amdgcn_target "amdgcn-amd-amdhsa--gfx906"
	.amdhsa_code_object_version 6
	.protected	fft_rtc_fwd_len384_factors_6_4_4_4_wgs_128_tpt_32_halfLds_dp_ip_CI_unitstride_sbrr_R2C_dirReg ; -- Begin function fft_rtc_fwd_len384_factors_6_4_4_4_wgs_128_tpt_32_halfLds_dp_ip_CI_unitstride_sbrr_R2C_dirReg
	.globl	fft_rtc_fwd_len384_factors_6_4_4_4_wgs_128_tpt_32_halfLds_dp_ip_CI_unitstride_sbrr_R2C_dirReg
	.p2align	8
	.type	fft_rtc_fwd_len384_factors_6_4_4_4_wgs_128_tpt_32_halfLds_dp_ip_CI_unitstride_sbrr_R2C_dirReg,@function
fft_rtc_fwd_len384_factors_6_4_4_4_wgs_128_tpt_32_halfLds_dp_ip_CI_unitstride_sbrr_R2C_dirReg: ; @fft_rtc_fwd_len384_factors_6_4_4_4_wgs_128_tpt_32_halfLds_dp_ip_CI_unitstride_sbrr_R2C_dirReg
; %bb.0:
	s_load_dwordx2 s[2:3], s[4:5], 0x50
	s_load_dwordx4 s[8:11], s[4:5], 0x0
	s_load_dwordx2 s[12:13], s[4:5], 0x18
	v_lshrrev_b32_e32 v7, 5, v0
	v_mov_b32_e32 v3, 0
	v_mov_b32_e32 v1, 0
	s_waitcnt lgkmcnt(0)
	v_cmp_lt_u64_e64 s[0:1], s[10:11], 2
	v_lshl_or_b32 v5, s6, 2, v7
	v_mov_b32_e32 v6, v3
	s_and_b64 vcc, exec, s[0:1]
	v_mov_b32_e32 v2, 0
	s_cbranch_vccnz .LBB0_8
; %bb.1:
	s_load_dwordx2 s[0:1], s[4:5], 0x10
	s_add_u32 s6, s12, 8
	s_addc_u32 s7, s13, 0
	v_mov_b32_e32 v1, 0
	v_mov_b32_e32 v2, 0
	s_waitcnt lgkmcnt(0)
	s_add_u32 s14, s0, 8
	s_addc_u32 s15, s1, 0
	s_mov_b64 s[16:17], 1
.LBB0_2:                                ; =>This Inner Loop Header: Depth=1
	s_load_dwordx2 s[18:19], s[14:15], 0x0
                                        ; implicit-def: $vgpr9_vgpr10
	s_waitcnt lgkmcnt(0)
	v_or_b32_e32 v4, s19, v6
	v_cmp_ne_u64_e32 vcc, 0, v[3:4]
	s_and_saveexec_b64 s[0:1], vcc
	s_xor_b64 s[20:21], exec, s[0:1]
	s_cbranch_execz .LBB0_4
; %bb.3:                                ;   in Loop: Header=BB0_2 Depth=1
	v_cvt_f32_u32_e32 v4, s18
	v_cvt_f32_u32_e32 v8, s19
	s_sub_u32 s0, 0, s18
	s_subb_u32 s1, 0, s19
	v_mac_f32_e32 v4, 0x4f800000, v8
	v_rcp_f32_e32 v4, v4
	v_mul_f32_e32 v4, 0x5f7ffffc, v4
	v_mul_f32_e32 v8, 0x2f800000, v4
	v_trunc_f32_e32 v8, v8
	v_mac_f32_e32 v4, 0xcf800000, v8
	v_cvt_u32_f32_e32 v8, v8
	v_cvt_u32_f32_e32 v4, v4
	v_mul_lo_u32 v9, s0, v8
	v_mul_hi_u32 v10, s0, v4
	v_mul_lo_u32 v12, s1, v4
	v_mul_lo_u32 v11, s0, v4
	v_add_u32_e32 v9, v10, v9
	v_add_u32_e32 v9, v9, v12
	v_mul_hi_u32 v10, v4, v11
	v_mul_lo_u32 v12, v4, v9
	v_mul_hi_u32 v14, v4, v9
	v_mul_hi_u32 v13, v8, v11
	v_mul_lo_u32 v11, v8, v11
	v_mul_hi_u32 v15, v8, v9
	v_add_co_u32_e32 v10, vcc, v10, v12
	v_addc_co_u32_e32 v12, vcc, 0, v14, vcc
	v_mul_lo_u32 v9, v8, v9
	v_add_co_u32_e32 v10, vcc, v10, v11
	v_addc_co_u32_e32 v10, vcc, v12, v13, vcc
	v_addc_co_u32_e32 v11, vcc, 0, v15, vcc
	v_add_co_u32_e32 v9, vcc, v10, v9
	v_addc_co_u32_e32 v10, vcc, 0, v11, vcc
	v_add_co_u32_e32 v4, vcc, v4, v9
	v_addc_co_u32_e32 v8, vcc, v8, v10, vcc
	v_mul_lo_u32 v9, s0, v8
	v_mul_hi_u32 v10, s0, v4
	v_mul_lo_u32 v11, s1, v4
	v_mul_lo_u32 v12, s0, v4
	v_add_u32_e32 v9, v10, v9
	v_add_u32_e32 v9, v9, v11
	v_mul_lo_u32 v13, v4, v9
	v_mul_hi_u32 v14, v4, v12
	v_mul_hi_u32 v15, v4, v9
	;; [unrolled: 1-line block ×3, first 2 shown]
	v_mul_lo_u32 v12, v8, v12
	v_mul_hi_u32 v10, v8, v9
	v_add_co_u32_e32 v13, vcc, v14, v13
	v_addc_co_u32_e32 v14, vcc, 0, v15, vcc
	v_mul_lo_u32 v9, v8, v9
	v_add_co_u32_e32 v12, vcc, v13, v12
	v_addc_co_u32_e32 v11, vcc, v14, v11, vcc
	v_addc_co_u32_e32 v10, vcc, 0, v10, vcc
	v_add_co_u32_e32 v9, vcc, v11, v9
	v_addc_co_u32_e32 v10, vcc, 0, v10, vcc
	v_add_co_u32_e32 v4, vcc, v4, v9
	v_addc_co_u32_e32 v10, vcc, v8, v10, vcc
	v_mad_u64_u32 v[8:9], s[0:1], v5, v10, 0
	v_mul_hi_u32 v11, v5, v4
	v_add_co_u32_e32 v12, vcc, v11, v8
	v_addc_co_u32_e32 v13, vcc, 0, v9, vcc
	v_mad_u64_u32 v[8:9], s[0:1], v6, v4, 0
	v_mad_u64_u32 v[10:11], s[0:1], v6, v10, 0
	v_add_co_u32_e32 v4, vcc, v12, v8
	v_addc_co_u32_e32 v4, vcc, v13, v9, vcc
	v_addc_co_u32_e32 v8, vcc, 0, v11, vcc
	v_add_co_u32_e32 v4, vcc, v4, v10
	v_addc_co_u32_e32 v10, vcc, 0, v8, vcc
	v_mul_lo_u32 v11, s19, v4
	v_mul_lo_u32 v12, s18, v10
	v_mad_u64_u32 v[8:9], s[0:1], s18, v4, 0
	v_add3_u32 v9, v9, v12, v11
	v_sub_u32_e32 v11, v6, v9
	v_mov_b32_e32 v12, s19
	v_sub_co_u32_e32 v8, vcc, v5, v8
	v_subb_co_u32_e64 v11, s[0:1], v11, v12, vcc
	v_subrev_co_u32_e64 v12, s[0:1], s18, v8
	v_subbrev_co_u32_e64 v11, s[0:1], 0, v11, s[0:1]
	v_cmp_le_u32_e64 s[0:1], s19, v11
	v_cndmask_b32_e64 v13, 0, -1, s[0:1]
	v_cmp_le_u32_e64 s[0:1], s18, v12
	v_cndmask_b32_e64 v12, 0, -1, s[0:1]
	v_cmp_eq_u32_e64 s[0:1], s19, v11
	v_cndmask_b32_e64 v11, v13, v12, s[0:1]
	v_add_co_u32_e64 v12, s[0:1], 2, v4
	v_addc_co_u32_e64 v13, s[0:1], 0, v10, s[0:1]
	v_add_co_u32_e64 v14, s[0:1], 1, v4
	v_addc_co_u32_e64 v15, s[0:1], 0, v10, s[0:1]
	v_subb_co_u32_e32 v9, vcc, v6, v9, vcc
	v_cmp_ne_u32_e64 s[0:1], 0, v11
	v_cmp_le_u32_e32 vcc, s19, v9
	v_cndmask_b32_e64 v11, v15, v13, s[0:1]
	v_cndmask_b32_e64 v13, 0, -1, vcc
	v_cmp_le_u32_e32 vcc, s18, v8
	v_cndmask_b32_e64 v8, 0, -1, vcc
	v_cmp_eq_u32_e32 vcc, s19, v9
	v_cndmask_b32_e32 v8, v13, v8, vcc
	v_cmp_ne_u32_e32 vcc, 0, v8
	v_cndmask_b32_e64 v8, v14, v12, s[0:1]
	v_cndmask_b32_e32 v10, v10, v11, vcc
	v_cndmask_b32_e32 v9, v4, v8, vcc
.LBB0_4:                                ;   in Loop: Header=BB0_2 Depth=1
	s_andn2_saveexec_b64 s[0:1], s[20:21]
	s_cbranch_execz .LBB0_6
; %bb.5:                                ;   in Loop: Header=BB0_2 Depth=1
	v_cvt_f32_u32_e32 v4, s18
	s_sub_i32 s20, 0, s18
	v_rcp_iflag_f32_e32 v4, v4
	v_mul_f32_e32 v4, 0x4f7ffffe, v4
	v_cvt_u32_f32_e32 v4, v4
	v_mul_lo_u32 v8, s20, v4
	v_mul_hi_u32 v8, v4, v8
	v_add_u32_e32 v4, v4, v8
	v_mul_hi_u32 v4, v5, v4
	v_mul_lo_u32 v8, v4, s18
	v_add_u32_e32 v9, 1, v4
	v_sub_u32_e32 v8, v5, v8
	v_subrev_u32_e32 v10, s18, v8
	v_cmp_le_u32_e32 vcc, s18, v8
	v_cndmask_b32_e32 v8, v8, v10, vcc
	v_cndmask_b32_e32 v4, v4, v9, vcc
	v_add_u32_e32 v9, 1, v4
	v_cmp_le_u32_e32 vcc, s18, v8
	v_cndmask_b32_e32 v9, v4, v9, vcc
	v_mov_b32_e32 v10, v3
.LBB0_6:                                ;   in Loop: Header=BB0_2 Depth=1
	s_or_b64 exec, exec, s[0:1]
	v_mul_lo_u32 v4, v10, s18
	v_mul_lo_u32 v8, v9, s19
	v_mad_u64_u32 v[11:12], s[0:1], v9, s18, 0
	s_load_dwordx2 s[0:1], s[6:7], 0x0
	s_add_u32 s16, s16, 1
	v_add3_u32 v4, v12, v8, v4
	v_sub_co_u32_e32 v5, vcc, v5, v11
	v_subb_co_u32_e32 v4, vcc, v6, v4, vcc
	s_waitcnt lgkmcnt(0)
	v_mul_lo_u32 v4, s0, v4
	v_mul_lo_u32 v6, s1, v5
	v_mad_u64_u32 v[1:2], s[0:1], s0, v5, v[1:2]
	s_addc_u32 s17, s17, 0
	s_add_u32 s6, s6, 8
	v_add3_u32 v2, v6, v2, v4
	v_mov_b32_e32 v4, s10
	v_mov_b32_e32 v5, s11
	s_addc_u32 s7, s7, 0
	v_cmp_ge_u64_e32 vcc, s[16:17], v[4:5]
	s_add_u32 s14, s14, 8
	s_addc_u32 s15, s15, 0
	s_cbranch_vccnz .LBB0_9
; %bb.7:                                ;   in Loop: Header=BB0_2 Depth=1
	v_mov_b32_e32 v5, v9
	v_mov_b32_e32 v6, v10
	s_branch .LBB0_2
.LBB0_8:
	v_mov_b32_e32 v10, v6
	v_mov_b32_e32 v9, v5
.LBB0_9:
	s_lshl_b64 s[0:1], s[10:11], 3
	s_add_u32 s0, s12, s0
	s_addc_u32 s1, s13, s1
	s_load_dwordx2 s[6:7], s[0:1], 0x0
	s_load_dwordx2 s[10:11], s[4:5], 0x20
	v_and_b32_e32 v8, 31, v0
	v_or_b32_e32 v12, 32, v8
	v_or_b32_e32 v14, 64, v8
	s_waitcnt lgkmcnt(0)
	v_mul_lo_u32 v3, s6, v10
	v_mul_lo_u32 v4, s7, v9
	v_mad_u64_u32 v[1:2], s[0:1], s6, v9, v[1:2]
	v_cmp_gt_u64_e32 vcc, s[10:11], v[9:10]
	v_cmp_le_u64_e64 s[0:1], s[10:11], v[9:10]
	v_add3_u32 v2, v4, v2, v3
	s_and_saveexec_b64 s[4:5], s[0:1]
	s_xor_b64 s[0:1], exec, s[4:5]
; %bb.10:
	v_or_b32_e32 v12, 32, v8
	v_or_b32_e32 v14, 64, v8
; %bb.11:
	s_or_saveexec_b64 s[4:5], s[0:1]
	v_mul_u32_u24_e32 v0, 0x181, v7
	v_lshlrev_b64 v[10:11], 4, v[1:2]
	v_lshlrev_b32_e32 v23, 4, v8
	v_lshlrev_b32_e32 v0, 4, v0
	s_xor_b64 exec, exec, s[4:5]
	s_cbranch_execz .LBB0_13
; %bb.12:
	v_mov_b32_e32 v1, s3
	v_add_co_u32_e64 v7, s[0:1], s2, v10
	v_addc_co_u32_e64 v9, s[0:1], v1, v11, s[0:1]
	v_add_co_u32_e64 v5, s[0:1], v7, v23
	v_addc_co_u32_e64 v6, s[0:1], 0, v9, s[0:1]
	v_or_b32_e32 v13, 0x1000, v23
	v_add_co_u32_e64 v60, s[0:1], v7, v13
	v_or_b32_e32 v36, 0x1200, v23
	v_addc_co_u32_e64 v61, s[0:1], 0, v9, s[0:1]
	v_add_co_u32_e64 v62, s[0:1], v7, v36
	v_or_b32_e32 v37, 0x1400, v23
	v_addc_co_u32_e64 v63, s[0:1], 0, v9, s[0:1]
	;; [unrolled: 3-line block ×3, first 2 shown]
	v_add_co_u32_e64 v66, s[0:1], v7, v38
	global_load_dwordx4 v[1:4], v[5:6], off
	global_load_dwordx4 v[15:18], v[5:6], off offset:512
	global_load_dwordx4 v[19:22], v[5:6], off offset:1024
	;; [unrolled: 1-line block ×5, first 2 shown]
	v_addc_co_u32_e64 v67, s[0:1], 0, v9, s[0:1]
	global_load_dwordx4 v[36:39], v[5:6], off offset:3072
	global_load_dwordx4 v[40:43], v[5:6], off offset:3584
	global_load_dwordx4 v[44:47], v[60:61], off
	global_load_dwordx4 v[48:51], v[62:63], off
	;; [unrolled: 1-line block ×4, first 2 shown]
	v_add3_u32 v5, 0, v0, v23
	s_waitcnt vmcnt(11)
	ds_write_b128 v5, v[1:4]
	s_waitcnt vmcnt(10)
	ds_write_b128 v5, v[15:18] offset:512
	s_waitcnt vmcnt(9)
	ds_write_b128 v5, v[19:22] offset:1024
	;; [unrolled: 2-line block ×11, first 2 shown]
.LBB0_13:
	s_or_b64 exec, exec, s[4:5]
	v_add_u32_e32 v25, 0, v0
	v_add3_u32 v0, 0, v23, v0
	s_waitcnt lgkmcnt(0)
	s_barrier
	v_add_u32_e32 v24, v25, v23
	ds_read_b128 v[1:4], v0 offset:2048
	ds_read_b128 v[15:18], v24
	ds_read_b128 v[19:22], v0 offset:5120
	ds_read_b128 v[26:29], v0 offset:512
	;; [unrolled: 1-line block ×9, first 2 shown]
	s_mov_b32 s0, 0xe8584caa
	s_mov_b32 s1, 0x3febb67a
	s_waitcnt lgkmcnt(5)
	v_add_f64 v[64:65], v[36:37], v[21:22]
	v_add_f64 v[66:67], v[34:35], v[19:20]
	v_add_f64 v[72:73], v[34:35], -v[19:20]
	v_add_f64 v[70:71], v[36:37], -v[21:22]
	s_mov_b32 s5, 0xbfebb67a
	s_mov_b32 s4, s0
	v_add_f64 v[5:6], v[15:16], v[1:2]
	v_add_f64 v[62:63], v[17:18], v[3:4]
	s_waitcnt lgkmcnt(0)
	v_fma_f64 v[64:65], v[64:65], -0.5, v[56:57]
	v_fma_f64 v[66:67], v[66:67], -0.5, v[54:55]
	v_add_f64 v[68:69], v[1:2], v[46:47]
	v_add_f64 v[74:75], v[3:4], -v[48:49]
	v_add_f64 v[3:4], v[3:4], v[48:49]
	v_add_f64 v[1:2], v[1:2], -v[46:47]
	v_add_f64 v[34:35], v[54:55], v[34:35]
	v_add_f64 v[36:37], v[56:57], v[36:37]
	v_fma_f64 v[76:77], v[72:73], s[4:5], v[64:65]
	v_fma_f64 v[78:79], v[70:71], s[0:1], v[66:67]
	v_add_f64 v[5:6], v[5:6], v[46:47]
	v_add_f64 v[46:47], v[62:63], v[48:49]
	v_fma_f64 v[48:49], v[70:71], s[4:5], v[66:67]
	v_fma_f64 v[62:63], v[72:73], s[0:1], v[64:65]
	v_fma_f64 v[15:16], v[68:69], -0.5, v[15:16]
	v_fma_f64 v[3:4], v[3:4], -0.5, v[17:18]
	v_mul_f64 v[54:55], v[76:77], s[0:1]
	v_mul_f64 v[56:57], v[78:79], s[4:5]
	v_add_f64 v[19:20], v[34:35], v[19:20]
	v_add_f64 v[17:18], v[36:37], v[21:22]
	v_mul_f64 v[21:22], v[48:49], -0.5
	s_movk_i32 s6, 0x50
	v_fma_f64 v[64:65], v[74:75], s[4:5], v[15:16]
	v_fma_f64 v[66:67], v[1:2], s[4:5], v[3:4]
	v_fma_f64 v[34:35], v[78:79], 0.5, v[54:55]
	v_mul_f64 v[54:55], v[62:63], -0.5
	v_fma_f64 v[36:37], v[76:77], 0.5, v[56:57]
	v_fma_f64 v[56:57], v[74:75], s[0:1], v[15:16]
	v_fma_f64 v[68:69], v[1:2], s[0:1], v[3:4]
	;; [unrolled: 1-line block ×3, first 2 shown]
	v_add_f64 v[1:2], v[5:6], v[19:20]
	v_add_f64 v[3:4], v[46:47], v[17:18]
	v_add_f64 v[15:16], v[5:6], -v[19:20]
	v_fma_f64 v[70:71], v[48:49], s[4:5], v[54:55]
	v_add_f64 v[21:22], v[66:67], v[36:37]
	v_add_f64 v[19:20], v[56:57], v[34:35]
	v_add_f64 v[17:18], v[46:47], -v[17:18]
	v_add_f64 v[46:47], v[64:65], v[62:63]
	v_mad_u32_u24 v5, v8, s6, v0
	ds_read_b128 v[58:61], v0 offset:1536
	s_waitcnt lgkmcnt(0)
	v_add_f64 v[48:49], v[68:69], v[70:71]
	s_barrier
	ds_write_b128 v5, v[1:4]
	ds_write_b128 v5, v[19:22] offset:16
	ds_write_b128 v5, v[46:49] offset:32
	v_add_f64 v[1:2], v[40:41], v[44:45]
	v_add_f64 v[3:4], v[38:39], v[42:43]
	v_add_f64 v[34:35], v[56:57], -v[34:35]
	v_add_f64 v[36:37], v[66:67], -v[36:37]
	;; [unrolled: 1-line block ×4, first 2 shown]
	ds_write_b128 v5, v[15:18] offset:48
	ds_write_b128 v5, v[34:37] offset:64
	;; [unrolled: 1-line block ×3, first 2 shown]
	v_add_f64 v[15:16], v[40:41], -v[44:45]
	v_add_f64 v[17:18], v[38:39], -v[42:43]
	v_fma_f64 v[1:2], v[1:2], -0.5, v[60:61]
	v_fma_f64 v[3:4], v[3:4], -0.5, v[58:59]
	v_add_f64 v[19:20], v[28:29], v[32:33]
	v_add_f64 v[21:22], v[30:31], v[50:51]
	v_add_f64 v[34:35], v[32:33], -v[52:53]
	v_add_f64 v[36:37], v[58:59], v[38:39]
	v_add_f64 v[32:33], v[32:33], v[52:53]
	v_add_f64 v[40:41], v[60:61], v[40:41]
	v_fma_f64 v[38:39], v[17:18], s[4:5], v[1:2]
	v_fma_f64 v[46:47], v[15:16], s[0:1], v[3:4]
	;; [unrolled: 1-line block ×4, first 2 shown]
	v_add_f64 v[5:6], v[26:27], v[30:31]
	v_add_f64 v[30:31], v[30:31], -v[50:51]
	v_add_f64 v[36:37], v[36:37], v[42:43]
	v_fma_f64 v[21:22], v[21:22], -0.5, v[26:27]
	v_mul_f64 v[17:18], v[38:39], s[0:1]
	v_mul_f64 v[42:43], v[46:47], s[4:5]
	v_fma_f64 v[26:27], v[32:33], -0.5, v[28:29]
	v_add_f64 v[28:29], v[40:41], v[44:45]
	v_mul_f64 v[32:33], v[3:4], -0.5
	v_mul_f64 v[40:41], v[15:16], -0.5
	v_add_f64 v[5:6], v[5:6], v[50:51]
	v_add_f64 v[19:20], v[19:20], v[52:53]
	v_fma_f64 v[44:45], v[46:47], 0.5, v[17:18]
	v_fma_f64 v[38:39], v[38:39], 0.5, v[42:43]
	v_fma_f64 v[42:43], v[34:35], s[0:1], v[21:22]
	v_fma_f64 v[46:47], v[30:31], s[4:5], v[26:27]
	;; [unrolled: 1-line block ×6, first 2 shown]
	v_add_f64 v[1:2], v[5:6], v[36:37]
	v_add_f64 v[3:4], v[19:20], v[28:29]
	v_add_f64 v[17:18], v[19:20], -v[28:29]
	v_add_f64 v[19:20], v[42:43], v[44:45]
	v_add_f64 v[21:22], v[46:47], v[38:39]
	v_add_f64 v[15:16], v[5:6], -v[36:37]
	;; [unrolled: 3-line block ×3, first 2 shown]
	v_add_f64 v[28:29], v[46:47], -v[38:39]
	v_add_f64 v[34:35], v[34:35], -v[50:51]
	;; [unrolled: 1-line block ×3, first 2 shown]
	v_mul_i32_i24_e32 v5, 6, v12
	v_lshl_add_u32 v9, v5, 4, v25
	ds_write_b128 v9, v[1:4]
	ds_write_b128 v9, v[19:22] offset:16
	ds_write_b128 v9, v[30:33] offset:32
	;; [unrolled: 1-line block ×5, first 2 shown]
	v_mul_lo_u16_e32 v13, 43, v8
	v_mov_b32_e32 v1, 6
	v_mul_lo_u16_sdwa v1, v13, v1 dst_sel:DWORD dst_unused:UNUSED_PAD src0_sel:BYTE_1 src1_sel:DWORD
	v_sub_u16_e32 v76, v8, v1
	v_mul_lo_u16_e32 v1, 3, v76
	v_mov_b32_e32 v2, 4
	v_lshlrev_b32_sdwa v1, v2, v1 dst_sel:DWORD dst_unused:UNUSED_PAD src0_sel:DWORD src1_sel:BYTE_0
	s_waitcnt lgkmcnt(0)
	s_barrier
	global_load_dwordx4 v[15:18], v1, s[8:9]
	global_load_dwordx4 v[19:22], v1, s[8:9] offset:16
	global_load_dwordx4 v[26:29], v1, s[8:9] offset:32
	s_movk_i32 s0, 0xab
	v_mul_lo_u16_sdwa v4, v12, s0 dst_sel:DWORD dst_unused:UNUSED_PAD src0_sel:BYTE_0 src1_sel:DWORD
	v_lshrrev_b16_e32 v77, 10, v4
	v_mul_lo_u16_e32 v1, 6, v77
	v_sub_u16_e32 v78, v12, v1
	v_mov_b32_e32 v3, 3
	v_mul_u32_u24_sdwa v1, v78, v3 dst_sel:DWORD dst_unused:UNUSED_PAD src0_sel:BYTE_0 src1_sel:DWORD
	v_lshlrev_b32_e32 v1, 4, v1
	global_load_dwordx4 v[30:33], v1, s[8:9]
	global_load_dwordx4 v[34:37], v1, s[8:9] offset:16
	global_load_dwordx4 v[38:41], v1, s[8:9] offset:32
	v_mul_lo_u16_sdwa v5, v14, s0 dst_sel:DWORD dst_unused:UNUSED_PAD src0_sel:BYTE_0 src1_sel:DWORD
	v_lshrrev_b16_e32 v79, 10, v5
	v_mul_lo_u16_e32 v1, 6, v79
	v_sub_u16_e32 v80, v14, v1
	v_mul_u32_u24_sdwa v1, v80, v3 dst_sel:DWORD dst_unused:UNUSED_PAD src0_sel:BYTE_0 src1_sel:DWORD
	v_lshlrev_b32_e32 v1, 4, v1
	global_load_dwordx4 v[42:45], v1, s[8:9]
	global_load_dwordx4 v[46:49], v1, s[8:9] offset:16
	global_load_dwordx4 v[50:53], v1, s[8:9] offset:32
	ds_read_b128 v[54:57], v0 offset:1536
	ds_read_b128 v[58:61], v24
	ds_read_b128 v[62:65], v0 offset:3072
	ds_read_b128 v[66:69], v0 offset:3584
	s_movk_i32 s0, 0xffb0
	s_add_u32 s4, s8, 0x17a0
	s_addc_u32 s5, s9, 0
	s_waitcnt vmcnt(8) lgkmcnt(3)
	v_mul_f64 v[1:2], v[56:57], v[17:18]
	v_mul_f64 v[6:7], v[54:55], v[17:18]
	s_waitcnt vmcnt(7) lgkmcnt(1)
	v_mul_f64 v[70:71], v[64:65], v[21:22]
	v_mul_f64 v[21:22], v[62:63], v[21:22]
	v_fma_f64 v[1:2], v[54:55], v[15:16], -v[1:2]
	v_fma_f64 v[6:7], v[56:57], v[15:16], v[6:7]
	ds_read_b128 v[15:18], v0 offset:4608
	v_fma_f64 v[62:63], v[62:63], v[19:20], -v[70:71]
	ds_read_b128 v[54:57], v0 offset:2048
	v_fma_f64 v[64:65], v[64:65], v[19:20], v[21:22]
	ds_read_b128 v[19:22], v0 offset:4096
	s_waitcnt vmcnt(6) lgkmcnt(2)
	v_mul_f64 v[70:71], v[17:18], v[28:29]
	v_mul_f64 v[28:29], v[15:16], v[28:29]
	v_add_f64 v[62:63], v[58:59], -v[62:63]
	v_add_f64 v[64:65], v[60:61], -v[64:65]
	v_fma_f64 v[70:71], v[15:16], v[26:27], -v[70:71]
	v_fma_f64 v[72:73], v[17:18], v[26:27], v[28:29]
	ds_read_b128 v[15:18], v0 offset:2560
	s_waitcnt vmcnt(5) lgkmcnt(2)
	v_mul_f64 v[26:27], v[56:57], v[32:33]
	v_mul_f64 v[28:29], v[54:55], v[32:33]
	s_waitcnt vmcnt(4)
	v_mul_f64 v[32:33], v[66:67], v[36:37]
	v_fma_f64 v[54:55], v[54:55], v[30:31], -v[26:27]
	v_fma_f64 v[56:57], v[56:57], v[30:31], v[28:29]
	v_mul_f64 v[30:31], v[68:69], v[36:37]
	ds_read_b128 v[26:29], v0 offset:5120
	v_fma_f64 v[68:69], v[68:69], v[34:35], v[32:33]
	v_fma_f64 v[66:67], v[66:67], v[34:35], -v[30:31]
	ds_read_b128 v[30:33], v0 offset:5632
	s_waitcnt vmcnt(3) lgkmcnt(1)
	v_mul_f64 v[34:35], v[28:29], v[40:41]
	v_mul_f64 v[36:37], v[26:27], v[40:41]
	v_fma_f64 v[40:41], v[26:27], v[38:39], -v[34:35]
	v_fma_f64 v[74:75], v[28:29], v[38:39], v[36:37]
	v_add_f64 v[37:38], v[1:2], -v[70:71]
	v_add_f64 v[35:36], v[6:7], -v[72:73]
	s_waitcnt vmcnt(2)
	v_mul_f64 v[26:27], v[17:18], v[44:45]
	v_mul_f64 v[28:29], v[15:16], v[44:45]
	v_fma_f64 v[44:45], v[58:59], 2.0, -v[62:63]
	v_fma_f64 v[58:59], v[60:61], 2.0, -v[64:65]
	v_add_f64 v[39:40], v[54:55], -v[40:41]
	v_fma_f64 v[1:2], v[1:2], 2.0, -v[37:38]
	v_fma_f64 v[6:7], v[6:7], 2.0, -v[35:36]
	v_fma_f64 v[60:61], v[15:16], v[42:43], -v[26:27]
	v_fma_f64 v[42:43], v[17:18], v[42:43], v[28:29]
	s_waitcnt vmcnt(1)
	v_mul_f64 v[26:27], v[21:22], v[48:49]
	v_mul_f64 v[28:29], v[19:20], v[48:49]
	s_waitcnt vmcnt(0) lgkmcnt(0)
	v_mul_f64 v[48:49], v[32:33], v[52:53]
	v_mul_f64 v[52:53], v[30:31], v[52:53]
	v_add_f64 v[15:16], v[44:45], -v[1:2]
	v_add_f64 v[17:18], v[58:59], -v[6:7]
	v_mov_b32_e32 v1, 24
	v_mul_lo_u16_sdwa v1, v13, v1 dst_sel:DWORD dst_unused:UNUSED_PAD src0_sel:BYTE_1 src1_sel:DWORD
	v_or_b32_e32 v2, v1, v76
	v_mad_i32_i24 v1, v12, s0, v9
	v_fma_f64 v[6:7], v[19:20], v[46:47], -v[26:27]
	v_fma_f64 v[46:47], v[21:22], v[46:47], v[28:29]
	v_fma_f64 v[48:49], v[30:31], v[50:51], -v[48:49]
	v_fma_f64 v[50:51], v[32:33], v[50:51], v[52:53]
	v_lshl_add_u32 v26, v14, 4, v25
	ds_read_b128 v[27:30], v1
	ds_read_b128 v[31:34], v26
	v_fma_f64 v[19:20], v[44:45], 2.0, -v[15:16]
	v_fma_f64 v[21:22], v[58:59], 2.0, -v[17:18]
	v_add_f64 v[35:36], v[62:63], -v[35:36]
	v_add_f64 v[37:38], v[64:65], v[37:38]
	s_waitcnt lgkmcnt(1)
	v_add_f64 v[44:45], v[27:28], -v[66:67]
	v_add_f64 v[52:53], v[29:30], -v[68:69]
	;; [unrolled: 1-line block ×3, first 2 shown]
	v_and_b32_e32 v2, 0xff, v2
	v_lshl_add_u32 v2, v2, 4, v25
	s_waitcnt lgkmcnt(0)
	s_barrier
	ds_write_b128 v2, v[19:22]
	v_fma_f64 v[19:20], v[62:63], 2.0, -v[35:36]
	v_fma_f64 v[21:22], v[64:65], 2.0, -v[37:38]
	;; [unrolled: 1-line block ×6, first 2 shown]
	v_add_f64 v[6:7], v[31:32], -v[6:7]
	v_add_f64 v[46:47], v[33:34], -v[46:47]
	;; [unrolled: 1-line block ×4, first 2 shown]
	ds_write_b128 v2, v[19:22] offset:96
	ds_write_b128 v2, v[15:18] offset:192
	v_add_f64 v[19:20], v[44:45], -v[58:59]
	v_add_f64 v[15:16], v[27:28], -v[54:55]
	;; [unrolled: 1-line block ×3, first 2 shown]
	v_fma_f64 v[54:55], v[31:32], 2.0, -v[6:7]
	v_fma_f64 v[56:57], v[33:34], 2.0, -v[46:47]
	;; [unrolled: 1-line block ×4, first 2 shown]
	v_add_f64 v[21:22], v[52:53], v[39:40]
	ds_write_b128 v2, v[35:38] offset:288
	v_fma_f64 v[27:28], v[27:28], 2.0, -v[15:16]
	v_fma_f64 v[29:30], v[29:30], 2.0, -v[17:18]
	v_add_f64 v[35:36], v[6:7], -v[50:51]
	v_add_f64 v[37:38], v[46:47], v[48:49]
	v_add_f64 v[31:32], v[54:55], -v[31:32]
	v_add_f64 v[33:34], v[56:57], -v[33:34]
	v_mul_u32_u24_e32 v2, 24, v77
	v_fma_f64 v[39:40], v[44:45], 2.0, -v[19:20]
	v_fma_f64 v[41:42], v[52:53], 2.0, -v[21:22]
	v_or_b32_sdwa v2, v2, v78 dst_sel:DWORD dst_unused:UNUSED_PAD src0_sel:DWORD src1_sel:BYTE_0
	v_lshl_add_u32 v2, v2, 4, v25
	ds_write_b128 v2, v[27:30]
	v_fma_f64 v[27:28], v[54:55], 2.0, -v[31:32]
	v_fma_f64 v[29:30], v[56:57], 2.0, -v[33:34]
	;; [unrolled: 1-line block ×4, first 2 shown]
	ds_write_b128 v2, v[39:42] offset:96
	ds_write_b128 v2, v[15:18] offset:192
	;; [unrolled: 1-line block ×3, first 2 shown]
	v_mul_u32_u24_e32 v2, 24, v79
	v_or_b32_sdwa v2, v2, v80 dst_sel:DWORD dst_unused:UNUSED_PAD src0_sel:DWORD src1_sel:BYTE_0
	v_lshl_add_u32 v2, v2, 4, v25
	ds_write_b128 v2, v[27:30]
	ds_write_b128 v2, v[43:46] offset:96
	ds_write_b128 v2, v[31:34] offset:192
	;; [unrolled: 1-line block ×3, first 2 shown]
	v_subrev_u32_e32 v2, 24, v8
	v_cmp_gt_u32_e64 s[0:1], 24, v8
	v_cndmask_b32_e64 v9, v2, v8, s[0:1]
	v_mul_i32_i24_e32 v15, 3, v9
	v_mov_b32_e32 v16, 0
	v_lshlrev_b64 v[6:7], 4, v[15:16]
	v_mov_b32_e32 v2, s9
	v_add_co_u32_e64 v6, s[0:1], s8, v6
	v_addc_co_u32_e64 v7, s[0:1], v2, v7, s[0:1]
	s_waitcnt lgkmcnt(0)
	s_barrier
	global_load_dwordx4 v[17:20], v[6:7], off offset:288
	global_load_dwordx4 v[27:30], v[6:7], off offset:304
	;; [unrolled: 1-line block ×3, first 2 shown]
	v_lshrrev_b16_e32 v7, 12, v4
	v_mul_lo_u16_e32 v4, 24, v7
	v_sub_u16_e32 v13, v12, v4
	v_mul_u32_u24_sdwa v4, v13, v3 dst_sel:DWORD dst_unused:UNUSED_PAD src0_sel:BYTE_0 src1_sel:DWORD
	v_lshlrev_b32_e32 v4, 4, v4
	global_load_dwordx4 v[35:38], v4, s[8:9] offset:288
	global_load_dwordx4 v[39:42], v4, s[8:9] offset:304
	;; [unrolled: 1-line block ×3, first 2 shown]
	v_lshrrev_b16_e32 v15, 12, v5
	v_mul_lo_u16_e32 v4, 24, v15
	v_sub_u16_e32 v77, v14, v4
	v_mul_u32_u24_sdwa v3, v77, v3 dst_sel:DWORD dst_unused:UNUSED_PAD src0_sel:BYTE_0 src1_sel:DWORD
	v_lshlrev_b32_e32 v21, 4, v3
	global_load_dwordx4 v[3:6], v21, s[8:9] offset:288
	global_load_dwordx4 v[47:50], v21, s[8:9] offset:304
	;; [unrolled: 1-line block ×3, first 2 shown]
	ds_read_b128 v[55:58], v0 offset:1536
	ds_read_b128 v[59:62], v24
	ds_read_b128 v[63:66], v0 offset:3072
	v_cmp_lt_u32_e64 s[0:1], 23, v8
	v_mul_u32_u24_e32 v7, 0x60, v7
	v_or_b32_sdwa v7, v7, v13 dst_sel:DWORD dst_unused:UNUSED_PAD src0_sel:DWORD src1_sel:BYTE_0
	v_lshl_add_u32 v7, v7, 4, v25
	s_waitcnt vmcnt(8) lgkmcnt(2)
	v_mul_f64 v[67:68], v[57:58], v[19:20]
	v_mul_f64 v[69:70], v[55:56], v[19:20]
	s_waitcnt vmcnt(7) lgkmcnt(0)
	v_mul_f64 v[71:72], v[65:66], v[29:30]
	v_mul_f64 v[29:30], v[63:64], v[29:30]
	ds_read_b128 v[19:22], v0 offset:3584
	v_fma_f64 v[67:68], v[55:56], v[17:18], -v[67:68]
	v_fma_f64 v[69:70], v[57:58], v[17:18], v[69:70]
	ds_read_b128 v[55:58], v0 offset:4608
	v_fma_f64 v[71:72], v[63:64], v[27:28], -v[71:72]
	v_fma_f64 v[73:74], v[65:66], v[27:28], v[29:30]
	ds_read_b128 v[27:30], v0 offset:4096
	ds_read_b128 v[63:66], v0 offset:2048
	s_waitcnt vmcnt(6) lgkmcnt(2)
	v_mul_f64 v[17:18], v[57:58], v[33:34]
	v_mul_f64 v[33:34], v[55:56], v[33:34]
	v_fma_f64 v[55:56], v[55:56], v[31:32], -v[17:18]
	v_fma_f64 v[57:58], v[57:58], v[31:32], v[33:34]
	ds_read_b128 v[31:34], v0 offset:2560
	s_waitcnt vmcnt(5) lgkmcnt(1)
	v_mul_f64 v[17:18], v[65:66], v[37:38]
	v_mul_f64 v[37:38], v[63:64], v[37:38]
	v_fma_f64 v[63:64], v[63:64], v[35:36], -v[17:18]
	s_waitcnt vmcnt(4)
	v_mul_f64 v[17:18], v[21:22], v[41:42]
	v_mul_f64 v[41:42], v[19:20], v[41:42]
	v_fma_f64 v[65:66], v[65:66], v[35:36], v[37:38]
	ds_read_b128 v[35:38], v0 offset:5120
	v_fma_f64 v[75:76], v[19:20], v[39:40], -v[17:18]
	ds_read_b128 v[17:20], v0 offset:5632
	v_fma_f64 v[21:22], v[21:22], v[39:40], v[41:42]
	s_waitcnt vmcnt(3) lgkmcnt(1)
	v_mul_f64 v[39:40], v[37:38], v[45:46]
	v_mul_f64 v[41:42], v[35:36], v[45:46]
	v_add_f64 v[45:46], v[61:62], -v[73:74]
	v_fma_f64 v[39:40], v[35:36], v[43:44], -v[39:40]
	v_fma_f64 v[41:42], v[37:38], v[43:44], v[41:42]
	v_add_f64 v[43:44], v[59:60], -v[71:72]
	v_add_f64 v[37:38], v[67:68], -v[55:56]
	;; [unrolled: 1-line block ×3, first 2 shown]
	s_waitcnt vmcnt(2)
	v_mul_f64 v[55:56], v[33:34], v[5:6]
	v_mul_f64 v[5:6], v[31:32], v[5:6]
	v_add_f64 v[39:40], v[63:64], -v[39:40]
	v_add_f64 v[41:42], v[65:66], -v[41:42]
	v_fma_f64 v[57:58], v[59:60], 2.0, -v[43:44]
	v_fma_f64 v[59:60], v[61:62], 2.0, -v[45:46]
	;; [unrolled: 1-line block ×4, first 2 shown]
	v_fma_f64 v[55:56], v[31:32], v[3:4], -v[55:56]
	s_waitcnt vmcnt(1)
	v_mul_f64 v[31:32], v[29:30], v[49:50]
	v_fma_f64 v[69:70], v[33:34], v[3:4], v[5:6]
	v_mul_f64 v[33:34], v[27:28], v[49:50]
	s_waitcnt vmcnt(0) lgkmcnt(0)
	v_mul_f64 v[49:50], v[19:20], v[53:54]
	v_mul_f64 v[53:54], v[17:18], v[53:54]
	v_add_f64 v[3:4], v[57:58], -v[61:62]
	v_add_f64 v[5:6], v[59:60], -v[67:68]
	;; [unrolled: 1-line block ×3, first 2 shown]
	v_fma_f64 v[61:62], v[27:28], v[47:48], -v[31:32]
	v_mov_b32_e32 v27, 0x60
	v_cndmask_b32_e64 v27, 0, v27, s[0:1]
	v_fma_f64 v[47:48], v[29:30], v[47:48], v[33:34]
	v_or_b32_e32 v9, v27, v9
	ds_read_b128 v[27:30], v1
	ds_read_b128 v[31:34], v26
	v_fma_f64 v[49:50], v[17:18], v[51:52], -v[49:50]
	v_fma_f64 v[51:52], v[19:20], v[51:52], v[53:54]
	v_fma_f64 v[17:18], v[57:58], 2.0, -v[3:4]
	v_fma_f64 v[19:20], v[59:60], 2.0, -v[5:6]
	v_add_f64 v[37:38], v[45:46], v[37:38]
	s_waitcnt lgkmcnt(1)
	v_add_f64 v[53:54], v[27:28], -v[75:76]
	v_add_f64 v[21:22], v[29:30], -v[21:22]
	v_lshl_add_u32 v9, v9, 4, v25
	s_waitcnt lgkmcnt(0)
	s_barrier
	ds_write_b128 v9, v[17:20]
	v_fma_f64 v[17:18], v[43:44], 2.0, -v[35:36]
	v_fma_f64 v[19:20], v[45:46], 2.0, -v[37:38]
	;; [unrolled: 1-line block ×6, first 2 shown]
	v_add_f64 v[57:58], v[31:32], -v[61:62]
	v_add_f64 v[47:48], v[33:34], -v[47:48]
	;; [unrolled: 1-line block ×4, first 2 shown]
	ds_write_b128 v9, v[17:20] offset:384
	ds_write_b128 v9, v[3:6] offset:768
	v_add_f64 v[17:18], v[53:54], -v[41:42]
	v_add_f64 v[3:4], v[27:28], -v[43:44]
	;; [unrolled: 1-line block ×3, first 2 shown]
	v_fma_f64 v[43:44], v[31:32], 2.0, -v[57:58]
	v_fma_f64 v[45:46], v[33:34], 2.0, -v[47:48]
	;; [unrolled: 1-line block ×4, first 2 shown]
	v_add_f64 v[19:20], v[21:22], v[39:40]
	ds_write_b128 v9, v[35:38] offset:1152
	v_fma_f64 v[27:28], v[27:28], 2.0, -v[3:4]
	v_fma_f64 v[29:30], v[29:30], 2.0, -v[5:6]
	v_add_f64 v[35:36], v[57:58], -v[51:52]
	v_add_f64 v[37:38], v[47:48], v[49:50]
	v_add_f64 v[31:32], v[43:44], -v[31:32]
	v_add_f64 v[33:34], v[45:46], -v[33:34]
	v_fma_f64 v[39:40], v[53:54], 2.0, -v[17:18]
	v_fma_f64 v[41:42], v[21:22], 2.0, -v[19:20]
	ds_write_b128 v7, v[27:30]
	ds_write_b128 v7, v[39:42] offset:384
	ds_write_b128 v7, v[3:6] offset:768
	;; [unrolled: 1-line block ×3, first 2 shown]
	v_fma_f64 v[27:28], v[43:44], 2.0, -v[31:32]
	v_fma_f64 v[29:30], v[45:46], 2.0, -v[33:34]
	;; [unrolled: 1-line block ×4, first 2 shown]
	v_mul_u32_u24_e32 v3, 0x60, v15
	v_or_b32_sdwa v3, v3, v77 dst_sel:DWORD dst_unused:UNUSED_PAD src0_sel:DWORD src1_sel:BYTE_0
	v_lshl_add_u32 v3, v3, 4, v25
	ds_write_b128 v3, v[27:30]
	ds_write_b128 v3, v[43:46] offset:384
	ds_write_b128 v3, v[31:34] offset:768
	ds_write_b128 v3, v[35:38] offset:1152
	v_mul_u32_u24_e32 v3, 3, v8
	v_lshlrev_b32_e32 v7, 4, v3
	s_waitcnt lgkmcnt(0)
	s_barrier
	global_load_dwordx4 v[3:6], v7, s[8:9] offset:1440
	global_load_dwordx4 v[17:20], v7, s[8:9] offset:1456
	;; [unrolled: 1-line block ×3, first 2 shown]
	v_mul_i32_i24_e32 v15, 3, v12
	v_lshlrev_b64 v[21:22], 4, v[15:16]
	v_mul_i32_i24_e32 v15, 3, v14
	v_add_co_u32_e64 v21, s[0:1], s8, v21
	v_addc_co_u32_e64 v22, s[0:1], v2, v22, s[0:1]
	global_load_dwordx4 v[31:34], v[21:22], off offset:1440
	global_load_dwordx4 v[35:38], v[21:22], off offset:1456
	;; [unrolled: 1-line block ×3, first 2 shown]
	v_lshlrev_b64 v[21:22], 4, v[15:16]
	v_add_co_u32_e64 v21, s[0:1], s8, v21
	v_addc_co_u32_e64 v22, s[0:1], v2, v22, s[0:1]
	global_load_dwordx4 v[43:46], v[21:22], off offset:1440
	global_load_dwordx4 v[47:50], v[21:22], off offset:1456
	global_load_dwordx4 v[51:54], v[21:22], off offset:1472
	ds_read_b128 v[55:58], v0 offset:1536
	ds_read_b128 v[59:62], v24
	ds_read_b128 v[63:66], v0 offset:3072
	ds_read_b128 v[67:70], v0 offset:3584
	ds_read_b128 v[71:74], v0 offset:4608
	v_cmp_ne_u32_e64 s[0:1], 0, v8
	s_waitcnt vmcnt(8) lgkmcnt(4)
	v_mul_f64 v[21:22], v[57:58], v[5:6]
	v_mul_f64 v[5:6], v[55:56], v[5:6]
	v_fma_f64 v[21:22], v[55:56], v[3:4], -v[21:22]
	s_waitcnt vmcnt(7) lgkmcnt(2)
	v_mul_f64 v[55:56], v[65:66], v[19:20]
	v_mul_f64 v[19:20], v[63:64], v[19:20]
	v_fma_f64 v[6:7], v[57:58], v[3:4], v[5:6]
	s_waitcnt vmcnt(6) lgkmcnt(0)
	v_mul_f64 v[57:58], v[73:74], v[29:30]
	v_mul_f64 v[29:30], v[71:72], v[29:30]
	ds_read_b128 v[2:5], v0 offset:4096
	v_fma_f64 v[55:56], v[63:64], v[17:18], -v[55:56]
	v_fma_f64 v[63:64], v[65:66], v[17:18], v[19:20]
	ds_read_b128 v[17:20], v0 offset:2048
	v_fma_f64 v[57:58], v[71:72], v[27:28], -v[57:58]
	v_fma_f64 v[65:66], v[73:74], v[27:28], v[29:30]
	ds_read_b128 v[27:30], v0 offset:2560
	s_waitcnt vmcnt(4)
	v_mul_f64 v[73:74], v[69:70], v[37:38]
	s_waitcnt lgkmcnt(1)
	v_mul_f64 v[71:72], v[19:20], v[33:34]
	v_mul_f64 v[33:34], v[17:18], v[33:34]
	;; [unrolled: 1-line block ×3, first 2 shown]
	v_fma_f64 v[67:68], v[67:68], v[35:36], -v[73:74]
	v_fma_f64 v[71:72], v[17:18], v[31:32], -v[71:72]
	v_fma_f64 v[75:76], v[19:20], v[31:32], v[33:34]
	ds_read_b128 v[17:20], v0 offset:5120
	v_fma_f64 v[69:70], v[69:70], v[35:36], v[37:38]
	ds_read_b128 v[31:34], v0 offset:5632
	s_waitcnt vmcnt(3) lgkmcnt(1)
	v_mul_f64 v[35:36], v[19:20], v[41:42]
	v_mul_f64 v[37:38], v[17:18], v[41:42]
	v_add_f64 v[41:42], v[59:60], -v[55:56]
	v_add_f64 v[55:56], v[21:22], -v[57:58]
	;; [unrolled: 1-line block ×4, first 2 shown]
	v_fma_f64 v[65:66], v[17:18], v[39:40], -v[35:36]
	v_fma_f64 v[73:74], v[19:20], v[39:40], v[37:38]
	s_waitcnt vmcnt(2)
	v_mul_f64 v[19:20], v[29:30], v[45:46]
	v_fma_f64 v[35:36], v[59:60], 2.0, -v[41:42]
	v_fma_f64 v[17:18], v[21:22], 2.0, -v[55:56]
	;; [unrolled: 1-line block ×4, first 2 shown]
	v_mul_f64 v[21:22], v[27:28], v[45:46]
	s_waitcnt vmcnt(1)
	v_mul_f64 v[39:40], v[4:5], v[49:50]
	v_mul_f64 v[45:46], v[2:3], v[49:50]
	s_waitcnt vmcnt(0) lgkmcnt(0)
	v_mul_f64 v[49:50], v[33:34], v[53:54]
	v_mul_f64 v[53:54], v[31:32], v[53:54]
	v_add_f64 v[17:18], v[35:36], -v[17:18]
	v_fma_f64 v[59:60], v[27:28], v[43:44], -v[19:20]
	v_add_f64 v[19:20], v[37:38], -v[6:7]
	v_fma_f64 v[21:22], v[29:30], v[43:44], v[21:22]
	v_fma_f64 v[6:7], v[2:3], v[47:48], -v[39:40]
	v_fma_f64 v[43:44], v[4:5], v[47:48], v[45:46]
	v_fma_f64 v[45:46], v[31:32], v[51:52], -v[49:50]
	v_fma_f64 v[47:48], v[33:34], v[51:52], v[53:54]
	v_fma_f64 v[2:3], v[35:36], 2.0, -v[17:18]
	v_add_f64 v[27:28], v[41:42], -v[63:64]
	v_add_f64 v[29:30], v[57:58], v[55:56]
	v_fma_f64 v[4:5], v[37:38], 2.0, -v[19:20]
	ds_read_b128 v[31:34], v1
	ds_read_b128 v[35:38], v26
	v_add_f64 v[53:54], v[71:72], -v[65:66]
	v_add_f64 v[55:56], v[75:76], -v[73:74]
	s_waitcnt lgkmcnt(0)
	v_add_f64 v[49:50], v[31:32], -v[67:68]
	v_add_f64 v[51:52], v[33:34], -v[69:70]
	v_fma_f64 v[39:40], v[41:42], 2.0, -v[27:28]
	v_fma_f64 v[41:42], v[57:58], 2.0, -v[29:30]
	v_add_f64 v[6:7], v[35:36], -v[6:7]
	v_add_f64 v[57:58], v[37:38], -v[43:44]
	v_add_f64 v[43:44], v[59:60], -v[45:46]
	v_add_f64 v[45:46], v[21:22], -v[47:48]
	v_fma_f64 v[47:48], v[31:32], 2.0, -v[49:50]
	v_fma_f64 v[61:62], v[33:34], 2.0, -v[51:52]
	;; [unrolled: 1-line block ×8, first 2 shown]
	s_barrier
	ds_write_b128 v0, v[2:5]
	ds_write_b128 v0, v[39:42] offset:1536
	v_add_f64 v[2:3], v[47:48], -v[31:32]
	v_add_f64 v[4:5], v[61:62], -v[33:34]
	;; [unrolled: 1-line block ×3, first 2 shown]
	v_add_f64 v[33:34], v[51:52], v[53:54]
	v_add_f64 v[35:36], v[63:64], -v[35:36]
	v_add_f64 v[37:38], v[65:66], -v[21:22]
	;; [unrolled: 1-line block ×3, first 2 shown]
	v_add_f64 v[41:42], v[57:58], v[43:44]
	v_fma_f64 v[43:44], v[47:48], 2.0, -v[2:3]
	v_fma_f64 v[45:46], v[61:62], 2.0, -v[4:5]
	;; [unrolled: 1-line block ×8, first 2 shown]
	ds_write_b128 v0, v[17:20] offset:3072
	ds_write_b128 v0, v[27:30] offset:4608
	ds_write_b128 v1, v[43:46]
	ds_write_b128 v1, v[47:50] offset:1536
	ds_write_b128 v1, v[2:5] offset:3072
	;; [unrolled: 1-line block ×3, first 2 shown]
	ds_write_b128 v26, v[51:54]
	ds_write_b128 v26, v[55:58] offset:1536
	ds_write_b128 v26, v[35:38] offset:3072
	ds_write_b128 v26, v[39:42] offset:4608
	s_waitcnt lgkmcnt(0)
	s_barrier
	ds_read_b128 v[4:7], v24
	v_sub_u32_e32 v27, v25, v23
                                        ; implicit-def: $vgpr0_vgpr1
                                        ; implicit-def: $vgpr19_vgpr20
                                        ; implicit-def: $vgpr21_vgpr22
                                        ; implicit-def: $vgpr17_vgpr18
	s_and_saveexec_b64 s[6:7], s[0:1]
	s_xor_b64 s[0:1], exec, s[6:7]
	s_cbranch_execz .LBB0_15
; %bb.14:
	global_load_dwordx4 v[17:20], v23, s[4:5]
	ds_read_b128 v[0:3], v27 offset:6144
	v_mov_b32_e32 v9, v16
	s_waitcnt lgkmcnt(0)
	v_add_f64 v[21:22], v[4:5], -v[0:1]
	v_add_f64 v[28:29], v[6:7], v[2:3]
	v_add_f64 v[2:3], v[6:7], -v[2:3]
	v_add_f64 v[0:1], v[4:5], v[0:1]
	v_mul_f64 v[6:7], v[21:22], 0.5
	v_mul_f64 v[4:5], v[28:29], 0.5
	;; [unrolled: 1-line block ×3, first 2 shown]
	s_waitcnt vmcnt(0)
	v_mul_f64 v[21:22], v[6:7], v[19:20]
	v_fma_f64 v[28:29], v[4:5], v[19:20], v[2:3]
	v_fma_f64 v[2:3], v[4:5], v[19:20], -v[2:3]
	v_fma_f64 v[30:31], v[0:1], 0.5, v[21:22]
	v_fma_f64 v[0:1], v[0:1], 0.5, -v[21:22]
	v_fma_f64 v[21:22], -v[17:18], v[6:7], v[28:29]
	v_fma_f64 v[2:3], -v[17:18], v[6:7], v[2:3]
	v_fma_f64 v[19:20], v[4:5], v[17:18], v[30:31]
	v_fma_f64 v[0:1], -v[4:5], v[17:18], v[0:1]
	v_mov_b32_e32 v18, v9
	v_mov_b32_e32 v17, v8
                                        ; implicit-def: $vgpr4_vgpr5
.LBB0_15:
	s_andn2_saveexec_b64 s[0:1], s[0:1]
	s_cbranch_execz .LBB0_17
; %bb.16:
	s_waitcnt lgkmcnt(0)
	v_add_f64 v[19:20], v[4:5], v[6:7]
	ds_read_b64 v[2:3], v25 offset:3080
	v_add_f64 v[0:1], v[4:5], -v[6:7]
	v_mov_b32_e32 v21, 0
	v_mov_b32_e32 v22, 0
	;; [unrolled: 1-line block ×3, first 2 shown]
	s_waitcnt lgkmcnt(0)
	v_xor_b32_e32 v3, 0x80000000, v3
	ds_write_b64 v25, v[2:3] offset:3080
	v_mov_b32_e32 v2, v21
	v_mov_b32_e32 v18, 0
	;; [unrolled: 1-line block ×3, first 2 shown]
.LBB0_17:
	s_or_b64 exec, exec, s[0:1]
	v_mov_b32_e32 v13, 0
	s_waitcnt lgkmcnt(0)
	v_lshlrev_b64 v[4:5], 4, v[12:13]
	v_mov_b32_e32 v6, s5
	v_add_co_u32_e64 v4, s[0:1], s4, v4
	v_addc_co_u32_e64 v5, s[0:1], v6, v5, s[0:1]
	global_load_dwordx4 v[4:7], v[4:5], off
	v_mov_b32_e32 v15, v13
	v_lshlrev_b64 v[13:14], 4, v[14:15]
	v_mov_b32_e32 v9, s5
	v_add_co_u32_e64 v13, s[0:1], s4, v13
	v_addc_co_u32_e64 v14, s[0:1], v9, v14, s[0:1]
	global_load_dwordx4 v[13:16], v[13:14], off
	ds_write2_b64 v24, v[19:20], v[21:22] offset1:1
	ds_write_b128 v27, v[0:3] offset:6144
	v_lshl_add_u32 v9, v12, 4, v25
	ds_read_b128 v[0:3], v9
	ds_read_b128 v[19:22], v27 offset:5632
	v_mov_b32_e32 v12, s5
	s_waitcnt lgkmcnt(0)
	v_add_f64 v[28:29], v[0:1], -v[19:20]
	v_add_f64 v[30:31], v[2:3], v[21:22]
	v_add_f64 v[2:3], v[2:3], -v[21:22]
	v_add_f64 v[19:20], v[0:1], v[19:20]
	v_lshlrev_b64 v[0:1], 4, v[17:18]
	v_add_co_u32_e64 v36, s[0:1], s4, v0
	v_mul_f64 v[21:22], v[28:29], 0.5
	v_mul_f64 v[28:29], v[30:31], 0.5
	v_mul_f64 v[2:3], v[2:3], 0.5
	v_addc_co_u32_e64 v37, s[0:1], v12, v1, s[0:1]
	s_waitcnt vmcnt(1)
	v_mul_f64 v[30:31], v[21:22], v[6:7]
	v_fma_f64 v[32:33], v[28:29], v[6:7], v[2:3]
	v_fma_f64 v[2:3], v[28:29], v[6:7], -v[2:3]
	v_fma_f64 v[34:35], v[19:20], 0.5, v[30:31]
	v_fma_f64 v[30:31], v[19:20], 0.5, -v[30:31]
	global_load_dwordx4 v[17:20], v[36:37], off offset:1536
	v_fma_f64 v[32:33], -v[4:5], v[21:22], v[32:33]
	v_fma_f64 v[6:7], -v[4:5], v[21:22], v[2:3]
	v_fma_f64 v[2:3], v[28:29], v[4:5], v[34:35]
	v_fma_f64 v[4:5], -v[28:29], v[4:5], v[30:31]
	ds_write2_b64 v9, v[2:3], v[32:33] offset1:1
	ds_write_b128 v27, v[4:7] offset:5632
	ds_read_b128 v[2:5], v26
	ds_read_b128 v[28:31], v27 offset:5120
	v_add_u32_e32 v9, 0x800, v24
	s_waitcnt lgkmcnt(0)
	v_add_f64 v[6:7], v[2:3], -v[28:29]
	v_add_f64 v[21:22], v[4:5], v[30:31]
	v_add_f64 v[4:5], v[4:5], -v[30:31]
	v_add_f64 v[2:3], v[2:3], v[28:29]
	v_mul_f64 v[6:7], v[6:7], 0.5
	v_mul_f64 v[21:22], v[21:22], 0.5
	;; [unrolled: 1-line block ×3, first 2 shown]
	s_waitcnt vmcnt(1)
	v_mul_f64 v[28:29], v[6:7], v[15:16]
	v_fma_f64 v[30:31], v[21:22], v[15:16], v[4:5]
	v_fma_f64 v[15:16], v[21:22], v[15:16], -v[4:5]
	v_fma_f64 v[32:33], v[2:3], 0.5, v[28:29]
	v_fma_f64 v[28:29], v[2:3], 0.5, -v[28:29]
	global_load_dwordx4 v[2:5], v[36:37], off offset:2048
	v_fma_f64 v[30:31], -v[13:14], v[6:7], v[30:31]
	v_fma_f64 v[15:16], -v[13:14], v[6:7], v[15:16]
	v_fma_f64 v[6:7], v[21:22], v[13:14], v[32:33]
	v_fma_f64 v[13:14], -v[21:22], v[13:14], v[28:29]
	ds_write2_b64 v26, v[6:7], v[30:31] offset1:1
	ds_write_b128 v27, v[13:16] offset:5120
	ds_read_b128 v[12:15], v24 offset:1536
	ds_read_b128 v[28:31], v27 offset:4608
	s_waitcnt lgkmcnt(0)
	v_add_f64 v[6:7], v[12:13], -v[28:29]
	v_add_f64 v[21:22], v[14:15], v[30:31]
	v_add_f64 v[14:15], v[14:15], -v[30:31]
	v_add_f64 v[12:13], v[12:13], v[28:29]
	v_mul_f64 v[6:7], v[6:7], 0.5
	v_mul_f64 v[21:22], v[21:22], 0.5
	;; [unrolled: 1-line block ×3, first 2 shown]
	s_waitcnt vmcnt(1)
	v_mul_f64 v[25:26], v[6:7], v[19:20]
	v_fma_f64 v[28:29], v[21:22], v[19:20], v[14:15]
	v_fma_f64 v[19:20], v[21:22], v[19:20], -v[14:15]
	v_fma_f64 v[30:31], v[12:13], 0.5, v[25:26]
	v_fma_f64 v[25:26], v[12:13], 0.5, -v[25:26]
	global_load_dwordx4 v[12:15], v[36:37], off offset:2560
	v_fma_f64 v[28:29], -v[17:18], v[6:7], v[28:29]
	v_fma_f64 v[19:20], -v[17:18], v[6:7], v[19:20]
	v_fma_f64 v[6:7], v[21:22], v[17:18], v[30:31]
	v_fma_f64 v[17:18], -v[21:22], v[17:18], v[25:26]
	ds_write2_b64 v24, v[6:7], v[28:29] offset0:192 offset1:193
	ds_write_b128 v27, v[17:20] offset:4608
	ds_read_b128 v[16:19], v24 offset:2048
	ds_read_b128 v[28:31], v27 offset:4096
	s_waitcnt lgkmcnt(0)
	v_add_f64 v[6:7], v[16:17], -v[28:29]
	v_add_f64 v[20:21], v[18:19], v[30:31]
	v_add_f64 v[18:19], v[18:19], -v[30:31]
	v_add_f64 v[16:17], v[16:17], v[28:29]
	v_mul_f64 v[6:7], v[6:7], 0.5
	v_mul_f64 v[20:21], v[20:21], 0.5
	;; [unrolled: 1-line block ×3, first 2 shown]
	s_waitcnt vmcnt(1)
	v_mul_f64 v[25:26], v[6:7], v[4:5]
	v_fma_f64 v[28:29], v[20:21], v[4:5], v[18:19]
	v_fma_f64 v[4:5], v[20:21], v[4:5], -v[18:19]
	v_fma_f64 v[18:19], v[16:17], 0.5, v[25:26]
	v_fma_f64 v[16:17], v[16:17], 0.5, -v[25:26]
	v_fma_f64 v[25:26], -v[2:3], v[6:7], v[28:29]
	v_fma_f64 v[4:5], -v[2:3], v[6:7], v[4:5]
	v_fma_f64 v[6:7], v[20:21], v[2:3], v[18:19]
	v_fma_f64 v[2:3], -v[20:21], v[2:3], v[16:17]
	ds_write2_b64 v9, v[6:7], v[25:26] offset1:1
	ds_write_b128 v27, v[2:5] offset:4096
	ds_read_b128 v[2:5], v24 offset:2560
	ds_read_b128 v[16:19], v27 offset:3584
	s_waitcnt lgkmcnt(0)
	v_add_f64 v[6:7], v[2:3], -v[16:17]
	v_add_f64 v[20:21], v[4:5], v[18:19]
	v_add_f64 v[4:5], v[4:5], -v[18:19]
	v_add_f64 v[2:3], v[2:3], v[16:17]
	v_mul_f64 v[6:7], v[6:7], 0.5
	v_mul_f64 v[18:19], v[20:21], 0.5
	;; [unrolled: 1-line block ×3, first 2 shown]
	s_waitcnt vmcnt(0)
	v_mul_f64 v[16:17], v[6:7], v[14:15]
	v_fma_f64 v[20:21], v[18:19], v[14:15], v[4:5]
	v_fma_f64 v[4:5], v[18:19], v[14:15], -v[4:5]
	v_fma_f64 v[14:15], v[2:3], 0.5, v[16:17]
	v_fma_f64 v[2:3], v[2:3], 0.5, -v[16:17]
	v_fma_f64 v[16:17], -v[12:13], v[6:7], v[20:21]
	v_fma_f64 v[4:5], -v[12:13], v[6:7], v[4:5]
	v_fma_f64 v[6:7], v[18:19], v[12:13], v[14:15]
	v_fma_f64 v[2:3], -v[18:19], v[12:13], v[2:3]
	ds_write2_b64 v9, v[6:7], v[16:17] offset0:64 offset1:65
	ds_write_b128 v27, v[2:5] offset:3584
	s_waitcnt lgkmcnt(0)
	s_barrier
	s_and_saveexec_b64 s[0:1], vcc
	s_cbranch_execz .LBB0_20
; %bb.18:
	v_mov_b32_e32 v2, s3
	v_add_co_u32_e32 v3, vcc, s2, v10
	v_addc_co_u32_e32 v2, vcc, v2, v11, vcc
	ds_read_b128 v[4:7], v24
	ds_read_b128 v[9:12], v24 offset:512
	ds_read_b128 v[13:16], v24 offset:1024
	v_add_co_u32_e32 v0, vcc, v3, v0
	v_addc_co_u32_e32 v1, vcc, v2, v1, vcc
	s_waitcnt lgkmcnt(2)
	global_store_dwordx4 v[0:1], v[4:7], off
	s_waitcnt lgkmcnt(1)
	global_store_dwordx4 v[0:1], v[9:12], off offset:512
	s_waitcnt lgkmcnt(0)
	global_store_dwordx4 v[0:1], v[13:16], off offset:1024
	ds_read_b128 v[4:7], v24 offset:1536
	ds_read_b128 v[9:12], v24 offset:2048
	;; [unrolled: 1-line block ×5, first 2 shown]
	s_waitcnt lgkmcnt(4)
	global_store_dwordx4 v[0:1], v[4:7], off offset:1536
	s_waitcnt lgkmcnt(3)
	global_store_dwordx4 v[0:1], v[9:12], off offset:2048
	;; [unrolled: 2-line block ×5, first 2 shown]
	ds_read_b128 v[4:7], v24 offset:4096
	ds_read_b128 v[9:12], v24 offset:4608
	v_or_b32_e32 v0, 0x1000, v23
	v_add_co_u32_e32 v0, vcc, v3, v0
	v_addc_co_u32_e32 v1, vcc, 0, v2, vcc
	s_waitcnt lgkmcnt(1)
	global_store_dwordx4 v[0:1], v[4:7], off
	v_or_b32_e32 v0, 0x1200, v23
	v_add_co_u32_e32 v0, vcc, v3, v0
	ds_read_b128 v[4:7], v24 offset:5120
	v_addc_co_u32_e32 v1, vcc, 0, v2, vcc
	s_waitcnt lgkmcnt(1)
	global_store_dwordx4 v[0:1], v[9:12], off
	ds_read_b128 v[9:12], v24 offset:5632
	v_or_b32_e32 v0, 0x1400, v23
	v_add_co_u32_e32 v0, vcc, v3, v0
	v_addc_co_u32_e32 v1, vcc, 0, v2, vcc
	s_waitcnt lgkmcnt(1)
	global_store_dwordx4 v[0:1], v[4:7], off
	v_or_b32_e32 v0, 0x1600, v23
	v_add_co_u32_e32 v0, vcc, v3, v0
	v_addc_co_u32_e32 v1, vcc, 0, v2, vcc
	v_cmp_eq_u32_e32 vcc, 31, v8
	s_waitcnt lgkmcnt(0)
	global_store_dwordx4 v[0:1], v[9:12], off
	s_and_b64 exec, exec, vcc
	s_cbranch_execz .LBB0_20
; %bb.19:
	ds_read_b128 v[4:7], v24 offset:5648
	v_add_co_u32_e32 v0, vcc, 0x1000, v3
	v_addc_co_u32_e32 v1, vcc, 0, v2, vcc
	s_waitcnt lgkmcnt(0)
	global_store_dwordx4 v[0:1], v[4:7], off offset:2048
.LBB0_20:
	s_endpgm
	.section	.rodata,"a",@progbits
	.p2align	6, 0x0
	.amdhsa_kernel fft_rtc_fwd_len384_factors_6_4_4_4_wgs_128_tpt_32_halfLds_dp_ip_CI_unitstride_sbrr_R2C_dirReg
		.amdhsa_group_segment_fixed_size 0
		.amdhsa_private_segment_fixed_size 0
		.amdhsa_kernarg_size 88
		.amdhsa_user_sgpr_count 6
		.amdhsa_user_sgpr_private_segment_buffer 1
		.amdhsa_user_sgpr_dispatch_ptr 0
		.amdhsa_user_sgpr_queue_ptr 0
		.amdhsa_user_sgpr_kernarg_segment_ptr 1
		.amdhsa_user_sgpr_dispatch_id 0
		.amdhsa_user_sgpr_flat_scratch_init 0
		.amdhsa_user_sgpr_private_segment_size 0
		.amdhsa_uses_dynamic_stack 0
		.amdhsa_system_sgpr_private_segment_wavefront_offset 0
		.amdhsa_system_sgpr_workgroup_id_x 1
		.amdhsa_system_sgpr_workgroup_id_y 0
		.amdhsa_system_sgpr_workgroup_id_z 0
		.amdhsa_system_sgpr_workgroup_info 0
		.amdhsa_system_vgpr_workitem_id 0
		.amdhsa_next_free_vgpr 81
		.amdhsa_next_free_sgpr 22
		.amdhsa_reserve_vcc 1
		.amdhsa_reserve_flat_scratch 0
		.amdhsa_float_round_mode_32 0
		.amdhsa_float_round_mode_16_64 0
		.amdhsa_float_denorm_mode_32 3
		.amdhsa_float_denorm_mode_16_64 3
		.amdhsa_dx10_clamp 1
		.amdhsa_ieee_mode 1
		.amdhsa_fp16_overflow 0
		.amdhsa_exception_fp_ieee_invalid_op 0
		.amdhsa_exception_fp_denorm_src 0
		.amdhsa_exception_fp_ieee_div_zero 0
		.amdhsa_exception_fp_ieee_overflow 0
		.amdhsa_exception_fp_ieee_underflow 0
		.amdhsa_exception_fp_ieee_inexact 0
		.amdhsa_exception_int_div_zero 0
	.end_amdhsa_kernel
	.text
.Lfunc_end0:
	.size	fft_rtc_fwd_len384_factors_6_4_4_4_wgs_128_tpt_32_halfLds_dp_ip_CI_unitstride_sbrr_R2C_dirReg, .Lfunc_end0-fft_rtc_fwd_len384_factors_6_4_4_4_wgs_128_tpt_32_halfLds_dp_ip_CI_unitstride_sbrr_R2C_dirReg
                                        ; -- End function
	.section	.AMDGPU.csdata,"",@progbits
; Kernel info:
; codeLenInByte = 7704
; NumSgprs: 26
; NumVgprs: 81
; ScratchSize: 0
; MemoryBound: 0
; FloatMode: 240
; IeeeMode: 1
; LDSByteSize: 0 bytes/workgroup (compile time only)
; SGPRBlocks: 3
; VGPRBlocks: 20
; NumSGPRsForWavesPerEU: 26
; NumVGPRsForWavesPerEU: 81
; Occupancy: 3
; WaveLimiterHint : 1
; COMPUTE_PGM_RSRC2:SCRATCH_EN: 0
; COMPUTE_PGM_RSRC2:USER_SGPR: 6
; COMPUTE_PGM_RSRC2:TRAP_HANDLER: 0
; COMPUTE_PGM_RSRC2:TGID_X_EN: 1
; COMPUTE_PGM_RSRC2:TGID_Y_EN: 0
; COMPUTE_PGM_RSRC2:TGID_Z_EN: 0
; COMPUTE_PGM_RSRC2:TIDIG_COMP_CNT: 0
	.type	__hip_cuid_3b28e6aef1ddd55e,@object ; @__hip_cuid_3b28e6aef1ddd55e
	.section	.bss,"aw",@nobits
	.globl	__hip_cuid_3b28e6aef1ddd55e
__hip_cuid_3b28e6aef1ddd55e:
	.byte	0                               ; 0x0
	.size	__hip_cuid_3b28e6aef1ddd55e, 1

	.ident	"AMD clang version 19.0.0git (https://github.com/RadeonOpenCompute/llvm-project roc-6.4.0 25133 c7fe45cf4b819c5991fe208aaa96edf142730f1d)"
	.section	".note.GNU-stack","",@progbits
	.addrsig
	.addrsig_sym __hip_cuid_3b28e6aef1ddd55e
	.amdgpu_metadata
---
amdhsa.kernels:
  - .args:
      - .actual_access:  read_only
        .address_space:  global
        .offset:         0
        .size:           8
        .value_kind:     global_buffer
      - .offset:         8
        .size:           8
        .value_kind:     by_value
      - .actual_access:  read_only
        .address_space:  global
        .offset:         16
        .size:           8
        .value_kind:     global_buffer
      - .actual_access:  read_only
        .address_space:  global
        .offset:         24
        .size:           8
        .value_kind:     global_buffer
      - .offset:         32
        .size:           8
        .value_kind:     by_value
      - .actual_access:  read_only
        .address_space:  global
        .offset:         40
        .size:           8
        .value_kind:     global_buffer
      - .actual_access:  read_only
        .address_space:  global
        .offset:         48
        .size:           8
        .value_kind:     global_buffer
      - .offset:         56
        .size:           4
        .value_kind:     by_value
      - .actual_access:  read_only
        .address_space:  global
        .offset:         64
        .size:           8
        .value_kind:     global_buffer
      - .actual_access:  read_only
        .address_space:  global
        .offset:         72
        .size:           8
        .value_kind:     global_buffer
      - .address_space:  global
        .offset:         80
        .size:           8
        .value_kind:     global_buffer
    .group_segment_fixed_size: 0
    .kernarg_segment_align: 8
    .kernarg_segment_size: 88
    .language:       OpenCL C
    .language_version:
      - 2
      - 0
    .max_flat_workgroup_size: 128
    .name:           fft_rtc_fwd_len384_factors_6_4_4_4_wgs_128_tpt_32_halfLds_dp_ip_CI_unitstride_sbrr_R2C_dirReg
    .private_segment_fixed_size: 0
    .sgpr_count:     26
    .sgpr_spill_count: 0
    .symbol:         fft_rtc_fwd_len384_factors_6_4_4_4_wgs_128_tpt_32_halfLds_dp_ip_CI_unitstride_sbrr_R2C_dirReg.kd
    .uniform_work_group_size: 1
    .uses_dynamic_stack: false
    .vgpr_count:     81
    .vgpr_spill_count: 0
    .wavefront_size: 64
amdhsa.target:   amdgcn-amd-amdhsa--gfx906
amdhsa.version:
  - 1
  - 2
...

	.end_amdgpu_metadata
